;; amdgpu-corpus repo=ROCm/rocFFT kind=compiled arch=gfx1030 opt=O3
	.text
	.amdgcn_target "amdgcn-amd-amdhsa--gfx1030"
	.amdhsa_code_object_version 6
	.protected	fft_rtc_back_len104_factors_4_13_2_wgs_208_tpt_26_dim2_dp_ip_CI_sbcc_twdbase8_3step_dirReg_intrinsicReadWrite ; -- Begin function fft_rtc_back_len104_factors_4_13_2_wgs_208_tpt_26_dim2_dp_ip_CI_sbcc_twdbase8_3step_dirReg_intrinsicReadWrite
	.globl	fft_rtc_back_len104_factors_4_13_2_wgs_208_tpt_26_dim2_dp_ip_CI_sbcc_twdbase8_3step_dirReg_intrinsicReadWrite
	.p2align	8
	.type	fft_rtc_back_len104_factors_4_13_2_wgs_208_tpt_26_dim2_dp_ip_CI_sbcc_twdbase8_3step_dirReg_intrinsicReadWrite,@function
fft_rtc_back_len104_factors_4_13_2_wgs_208_tpt_26_dim2_dp_ip_CI_sbcc_twdbase8_3step_dirReg_intrinsicReadWrite: ; @fft_rtc_back_len104_factors_4_13_2_wgs_208_tpt_26_dim2_dp_ip_CI_sbcc_twdbase8_3step_dirReg_intrinsicReadWrite
; %bb.0:
	s_load_dwordx4 s[0:3], s[4:5], 0x10
	s_mov_b32 s7, 0
	s_mov_b64 s[14:15], 0
	s_waitcnt lgkmcnt(0)
	s_load_dwordx2 s[10:11], s[0:1], 0x8
	s_load_dwordx2 s[8:9], s[4:5], 0x50
	;; [unrolled: 1-line block ×3, first 2 shown]
	s_waitcnt lgkmcnt(0)
	s_add_u32 s0, s10, -1
	s_addc_u32 s1, s11, -1
	s_lshr_b64 s[0:1], s[0:1], 3
	s_add_u32 s16, s0, 1
	s_addc_u32 s17, s1, 0
	v_cmp_lt_u64_e64 s0, s[6:7], s[16:17]
	s_and_b32 vcc_lo, exec_lo, s0
	s_cbranch_vccnz .LBB0_2
; %bb.1:
	v_cvt_f32_u32_e32 v1, s16
	s_sub_i32 s1, 0, s16
	v_rcp_iflag_f32_e32 v1, v1
	v_mul_f32_e32 v1, 0x4f7ffffe, v1
	v_cvt_u32_f32_e32 v1, v1
	v_readfirstlane_b32 s0, v1
	s_mul_i32 s1, s1, s0
	s_mul_hi_u32 s1, s0, s1
	s_add_i32 s0, s0, s1
	s_mul_hi_u32 s0, s6, s0
	s_mul_i32 s1, s0, s16
	s_add_i32 s7, s0, 1
	s_sub_i32 s1, s6, s1
	s_sub_i32 s13, s1, s16
	s_cmp_ge_u32 s1, s16
	s_cselect_b32 s0, s7, s0
	s_cselect_b32 s1, s13, s1
	s_add_i32 s7, s0, 1
	s_cmp_ge_u32 s1, s16
	s_cselect_b32 s14, s7, s0
.LBB0_2:
	s_load_dwordx4 s[0:3], s[2:3], 0x8
	s_waitcnt lgkmcnt(0)
	s_mul_i32 s3, s14, s17
	s_mul_hi_u32 s7, s14, s16
	s_mul_i32 s13, s14, s16
	v_lshrrev_b32_e32 v149, 3, v0
	s_add_i32 s7, s7, s3
	s_sub_u32 s6, s6, s13
	v_and_b32_e32 v23, 7, v0
	s_subb_u32 s7, 0, s7
	v_add_nc_u32_e32 v2, 52, v149
	s_lshl_b64 s[6:7], s[6:7], 3
	v_add_nc_u32_e32 v148, 26, v149
	v_mul_lo_u32 v1, s12, v149
	v_add_nc_u32_e32 v3, 0x4e, v149
	v_or_b32_e32 v55, s6, v23
	v_mov_b32_e32 v56, s7
	v_mul_lo_u32 v2, s12, v2
	v_mul_lo_u32 v4, s12, v148
	;; [unrolled: 1-line block ×3, first 2 shown]
	v_lshlrev_b32_e32 v150, 4, v23
	s_mul_i32 s3, s6, s0
	s_mul_i32 s2, s2, s14
	v_mad_u64_u32 v[53:54], null, s0, v23, 0
	s_add_i32 s0, s2, s3
	s_add_u32 s2, s6, 8
	s_addc_u32 s3, s7, 0
	v_cmp_gt_u64_e32 vcc_lo, s[10:11], v[55:56]
	v_cmp_le_u64_e64 s2, s[2:3], s[10:11]
	s_lshl_b32 s13, s0, 4
	v_add_lshl_u32 v1, v53, v1, 4
	v_add_lshl_u32 v2, v53, v2, 4
	v_add_lshl_u32 v4, v53, v4, 4
	s_mov_b32 s11, 0x31014000
	s_or_b32 vcc_lo, s2, vcc_lo
	s_mov_b32 s10, -2
	v_cndmask_b32_e32 v5, -1, v1, vcc_lo
	v_add_lshl_u32 v1, v53, v3, 4
	v_cndmask_b32_e32 v2, -1, v2, vcc_lo
	v_cndmask_b32_e32 v9, -1, v4, vcc_lo
	s_load_dwordx2 s[2:3], s[4:5], 0x0
	v_cmp_gt_u32_e64 s0, 64, v0
	v_cndmask_b32_e32 v13, -1, v1, vcc_lo
	s_clause 0x3
	buffer_load_dwordx4 v[1:4], v2, s[8:11], s13 offen
	buffer_load_dwordx4 v[5:8], v5, s[8:11], s13 offen
	buffer_load_dwordx4 v[9:12], v9, s[8:11], s13 offen
	buffer_load_dwordx4 v[13:16], v13, s[8:11], s13 offen
                                        ; implicit-def: $vgpr39_vgpr40
                                        ; implicit-def: $vgpr35_vgpr36
                                        ; implicit-def: $vgpr47_vgpr48
                                        ; implicit-def: $vgpr43_vgpr44
                                        ; implicit-def: $vgpr51_vgpr52
                                        ; implicit-def: $vgpr31_vgpr32
                                        ; implicit-def: $vgpr27_vgpr28
	s_waitcnt vmcnt(2)
	v_add_f64 v[1:2], v[5:6], -v[1:2]
	v_add_f64 v[3:4], v[7:8], -v[3:4]
	s_waitcnt vmcnt(0)
	v_add_f64 v[17:18], v[9:10], -v[13:14]
	v_add_f64 v[13:14], v[11:12], -v[15:16]
	v_fma_f64 v[19:20], v[5:6], 2.0, -v[1:2]
	v_fma_f64 v[21:22], v[7:8], 2.0, -v[3:4]
	;; [unrolled: 1-line block ×4, first 2 shown]
	v_add_f64 v[13:14], v[1:2], v[13:14]
	v_add_f64 v[15:16], v[3:4], -v[17:18]
	v_lshlrev_b32_e32 v18, 9, v149
	v_mov_b32_e32 v17, v54
	v_add_f64 v[9:10], v[19:20], -v[5:6]
	v_add_f64 v[11:12], v[21:22], -v[7:8]
	v_fma_f64 v[5:6], v[1:2], 2.0, -v[13:14]
	v_fma_f64 v[7:8], v[3:4], 2.0, -v[15:16]
	;; [unrolled: 1-line block ×4, first 2 shown]
	v_add3_u32 v19, 0, v18, v150
	v_mad_u64_u32 v[17:18], null, s1, v23, v[17:18]
                                        ; implicit-def: $vgpr23_vgpr24
	ds_write_b128 v19, v[13:16] offset:384
	ds_write_b128 v19, v[5:8] offset:128
	;; [unrolled: 1-line block ×3, first 2 shown]
	ds_write_b128 v19, v[1:4]
	s_waitcnt lgkmcnt(0)
	s_barrier
	buffer_gl0_inv
                                        ; implicit-def: $vgpr19_vgpr20
	s_and_saveexec_b32 s1, s0
	s_cbranch_execz .LBB0_4
; %bb.3:
	v_and_b32_e32 v1, 56, v0
	v_lshlrev_b32_e32 v1, 4, v1
	v_add3_u32 v21, 0, v1, v150
	ds_read_b128 v[1:4], v21
	ds_read_b128 v[5:8], v21 offset:1024
	ds_read_b128 v[9:12], v21 offset:2048
	;; [unrolled: 1-line block ×12, first 2 shown]
.LBB0_4:
	s_or_b32 exec_lo, exec_lo, s1
	s_waitcnt lgkmcnt(0)
	s_barrier
	buffer_gl0_inv
	s_and_saveexec_b32 s33, s0
	s_cbranch_execz .LBB0_6
; %bb.5:
	v_bfe_u32 v54, v0, 3, 2
	s_mov_b32 s34, 0x42a4c3d2
	s_mov_b32 s35, 0x3fea55e2
	;; [unrolled: 1-line block ×4, first 2 shown]
	v_mul_u32_u24_e32 v56, 12, v54
	s_mov_b32 s37, 0x3fddbe06
	s_mov_b32 s36, 0x4267c47c
	;; [unrolled: 1-line block ×4, first 2 shown]
	v_lshlrev_b32_e32 v84, 4, v56
	s_mov_b32 s14, 0x1ea71119
	s_mov_b32 s16, 0x24c2f84
	;; [unrolled: 1-line block ×4, first 2 shown]
	s_clause 0x1
	global_load_dwordx4 v[58:61], v84, s[2:3] offset:80
	global_load_dwordx4 v[66:69], v84, s[2:3] offset:64
	s_mov_b32 s19, 0xbfedeba7
	s_mov_b32 s15, 0x3fe22d96
	s_mov_b32 s17, 0xbfe5384d
	s_mov_b32 s23, 0xbfcea1e5
	s_mov_b32 s29, 0xbfefc445
	s_mov_b32 s28, s26
	s_mov_b32 s10, 0xebaa3ed8
	s_mov_b32 s0, 0xb2365da1
	s_mov_b32 s6, 0xd0032e0c
	s_mov_b32 s24, 0xe00740e9
	s_mov_b32 s20, 0x93053d00
	s_mov_b32 s11, 0x3fbedb7d
	s_mov_b32 s1, 0xbfd6b1d8
	s_mov_b32 s7, 0xbfe7f3cc
	s_mov_b32 s25, 0x3fec55a7
	s_mov_b32 s21, 0xbfef11f4
	s_mov_b32 s39, 0x3fe5384d
	s_mov_b32 s38, s16
	s_waitcnt vmcnt(1)
	v_mul_f64 v[56:57], v[51:52], v[60:61]
	v_fma_f64 v[56:57], v[49:50], v[58:59], v[56:57]
	v_mul_f64 v[49:50], v[49:50], v[60:61]
	s_clause 0x1
	global_load_dwordx4 v[60:63], v84, s[2:3] offset:96
	global_load_dwordx4 v[70:73], v84, s[2:3] offset:112
	v_fma_f64 v[49:50], v[51:52], v[58:59], -v[49:50]
	s_waitcnt vmcnt(1)
	v_mul_f64 v[51:52], v[43:44], v[62:63]
	v_fma_f64 v[58:59], v[41:42], v[60:61], v[51:52]
	v_mul_f64 v[41:42], v[41:42], v[62:63]
	v_add_f64 v[86:87], v[56:57], -v[58:59]
	v_fma_f64 v[60:61], v[43:44], v[60:61], -v[41:42]
	v_mul_f64 v[41:42], v[31:32], v[68:69]
	v_mul_f64 v[104:105], v[86:87], s[36:37]
	v_add_f64 v[90:91], v[49:50], -v[60:61]
	v_fma_f64 v[64:65], v[29:30], v[66:67], v[41:42]
	v_mul_f64 v[29:30], v[29:30], v[68:69]
	v_mul_f64 v[177:178], v[86:87], s[26:27]
	;; [unrolled: 1-line block ×4, first 2 shown]
	v_fma_f64 v[66:67], v[31:32], v[66:67], -v[29:30]
	s_waitcnt vmcnt(0)
	v_mul_f64 v[29:30], v[47:48], v[72:73]
	v_fma_f64 v[43:44], v[45:46], v[70:71], v[29:30]
	v_mul_f64 v[29:30], v[45:46], v[72:73]
	v_add_f64 v[88:89], v[64:65], -v[43:44]
	v_fma_f64 v[47:48], v[47:48], v[70:71], -v[29:30]
	s_clause 0x1
	global_load_dwordx4 v[29:32], v84, s[2:3] offset:48
	global_load_dwordx4 v[72:75], v84, s[2:3] offset:32
	s_waitcnt vmcnt(1)
	v_mul_f64 v[41:42], v[27:28], v[31:32]
	v_fma_f64 v[68:69], v[25:26], v[29:30], v[41:42]
	v_mul_f64 v[25:26], v[25:26], v[31:32]
	v_fma_f64 v[70:71], v[27:28], v[29:30], -v[25:26]
	s_clause 0x1
	global_load_dwordx4 v[25:28], v84, s[2:3] offset:128
	global_load_dwordx4 v[29:32], v84, s[2:3] offset:144
	s_waitcnt vmcnt(1)
	v_mul_f64 v[41:42], v[35:36], v[27:28]
	v_mul_f64 v[27:28], v[33:34], v[27:28]
	v_fma_f64 v[41:42], v[33:34], v[25:26], v[41:42]
	v_fma_f64 v[45:46], v[35:36], v[25:26], -v[27:28]
	v_mul_f64 v[25:26], v[15:16], v[74:75]
	v_add_f64 v[94:95], v[68:69], -v[41:42]
	v_add_f64 v[92:93], v[70:71], -v[45:46]
	v_fma_f64 v[76:77], v[13:14], v[72:73], v[25:26]
	v_mul_f64 v[13:14], v[13:14], v[74:75]
	v_fma_f64 v[78:79], v[15:16], v[72:73], -v[13:14]
	s_waitcnt vmcnt(0)
	v_mul_f64 v[13:14], v[39:40], v[31:32]
	v_fma_f64 v[51:52], v[37:38], v[29:30], v[13:14]
	v_mul_f64 v[13:14], v[37:38], v[31:32]
	v_mul_f64 v[31:32], v[94:95], s[36:37]
	v_add_f64 v[98:99], v[76:77], -v[51:52]
	v_fma_f64 v[37:38], v[39:40], v[29:30], -v[13:14]
	s_clause 0x1
	global_load_dwordx4 v[13:16], v84, s[2:3] offset:16
	global_load_dwordx4 v[25:28], v84, s[2:3]
	v_add_f64 v[96:97], v[78:79], -v[37:38]
	s_waitcnt vmcnt(1)
	v_mul_f64 v[29:30], v[11:12], v[15:16]
	v_fma_f64 v[80:81], v[9:10], v[13:14], v[29:30]
	v_mul_f64 v[9:10], v[9:10], v[15:16]
	v_fma_f64 v[82:83], v[11:12], v[13:14], -v[9:10]
	s_clause 0x1
	global_load_dwordx4 v[9:12], v84, s[2:3] offset:160
	global_load_dwordx4 v[13:16], v84, s[2:3] offset:176
	v_add_f64 v[84:85], v[66:67], -v[47:48]
	v_mul_f64 v[173:174], v[84:85], s[18:19]
	s_waitcnt vmcnt(1)
	v_mul_f64 v[29:30], v[19:20], v[11:12]
	v_mul_f64 v[11:12], v[17:18], v[11:12]
	v_fma_f64 v[72:73], v[17:18], v[9:10], v[29:30]
	v_fma_f64 v[74:75], v[19:20], v[9:10], -v[11:12]
	v_mul_f64 v[9:10], v[7:8], v[27:28]
	v_mul_f64 v[29:30], v[92:93], s[36:37]
	v_add_f64 v[102:103], v[80:81], -v[72:73]
	v_add_f64 v[100:101], v[82:83], -v[74:75]
	v_fma_f64 v[9:10], v[5:6], v[25:26], v[9:10]
	v_mul_f64 v[5:6], v[5:6], v[27:28]
	v_mul_f64 v[11:12], v[100:101], s[36:37]
	v_fma_f64 v[5:6], v[7:8], v[25:26], -v[5:6]
	s_waitcnt vmcnt(0)
	v_mul_f64 v[7:8], v[23:24], v[15:16]
	v_fma_f64 v[39:40], v[21:22], v[13:14], v[7:8]
	v_mul_f64 v[7:8], v[21:22], v[15:16]
	v_mul_f64 v[15:16], v[84:85], s[36:37]
	v_mul_f64 v[21:22], v[96:97], s[36:37]
	v_add_f64 v[17:18], v[9:10], -v[39:40]
	v_fma_f64 v[62:63], v[23:24], v[13:14], -v[7:8]
	v_mul_f64 v[7:8], v[102:103], s[36:37]
	v_mul_f64 v[13:14], v[88:89], s[36:37]
	;; [unrolled: 1-line block ×3, first 2 shown]
	s_mov_b32 s37, 0xbfddbe06
	v_add_f64 v[132:133], v[9:10], v[39:40]
	v_mul_f64 v[35:36], v[17:18], s[30:31]
	v_add_f64 v[108:109], v[5:6], v[62:63]
	v_mul_f64 v[19:20], v[17:18], s[22:23]
	v_mul_f64 v[25:26], v[17:18], s[16:17]
	;; [unrolled: 1-line block ×5, first 2 shown]
	v_fma_f64 v[120:121], v[108:109], s[14:15], v[35:36]
	v_fma_f64 v[122:123], v[108:109], s[14:15], -v[35:36]
	v_add_f64 v[35:36], v[5:6], -v[62:63]
	v_fma_f64 v[112:113], v[108:109], s[20:21], v[19:20]
	v_fma_f64 v[19:20], v[108:109], s[20:21], -v[19:20]
	v_fma_f64 v[114:115], v[108:109], s[6:7], v[25:26]
	v_fma_f64 v[25:26], v[108:109], s[6:7], -v[25:26]
	;; [unrolled: 2-line block ×5, first 2 shown]
	v_mul_f64 v[108:109], v[35:36], s[22:23]
	v_mul_f64 v[110:111], v[35:36], s[16:17]
	;; [unrolled: 1-line block ×6, first 2 shown]
	v_add_f64 v[163:164], v[3:4], v[116:117]
	v_add_f64 v[116:117], v[82:83], v[74:75]
	;; [unrolled: 1-line block ×9, first 2 shown]
	s_mov_b32 s37, 0x3fcea1e5
	s_mov_b32 s36, s22
	v_fma_f64 v[134:135], v[132:133], s[20:21], -v[108:109]
	v_fma_f64 v[136:137], v[132:133], s[20:21], v[108:109]
	v_fma_f64 v[138:139], v[132:133], s[6:7], -v[110:111]
	v_fma_f64 v[140:141], v[132:133], s[6:7], v[110:111]
	;; [unrolled: 2-line block ×6, first 2 shown]
	v_add_f64 v[110:111], v[3:4], v[5:6]
	v_add_f64 v[108:109], v[1:2], v[9:10]
	;; [unrolled: 1-line block ×18, first 2 shown]
	v_fma_f64 v[1:2], v[116:117], s[24:25], v[7:8]
	v_add_f64 v[142:143], v[3:4], v[122:123]
	v_add_f64 v[138:139], v[3:4], v[124:125]
	v_fma_f64 v[3:4], v[118:119], s[24:25], -v[11:12]
	v_add_f64 v[122:123], v[76:77], v[51:52]
	v_add_f64 v[124:125], v[70:71], v[45:46]
	v_mul_f64 v[151:152], v[92:93], s[34:35]
	v_fma_f64 v[7:8], v[116:117], s[24:25], -v[7:8]
	v_mul_f64 v[153:154], v[88:89], s[18:19]
	v_fma_f64 v[11:12], v[118:119], s[24:25], v[11:12]
	v_add_f64 v[134:135], v[56:57], v[58:59]
	v_add_f64 v[82:83], v[110:111], v[82:83]
	;; [unrolled: 1-line block ×4, first 2 shown]
	v_mul_f64 v[5:6], v[98:99], s[16:17]
	v_add_f64 v[3:4], v[3:4], v[9:10]
	v_add_f64 v[7:8], v[7:8], v[19:20]
	v_mul_f64 v[19:20], v[100:101], s[26:27]
	v_add_f64 v[11:12], v[11:12], v[155:156]
	v_add_f64 v[78:79], v[82:83], v[78:79]
	;; [unrolled: 1-line block ×3, first 2 shown]
	v_fma_f64 v[9:10], v[120:121], s[6:7], v[5:6]
	v_fma_f64 v[5:6], v[120:121], s[6:7], -v[5:6]
	v_add_f64 v[70:71], v[78:79], v[70:71]
	v_add_f64 v[1:2], v[9:10], v[1:2]
	v_mul_f64 v[9:10], v[96:97], s[16:17]
	v_add_f64 v[5:6], v[5:6], v[7:8]
	v_fma_f64 v[17:18], v[122:123], s[6:7], -v[9:10]
	v_fma_f64 v[7:8], v[122:123], s[6:7], v[9:10]
	v_add_f64 v[3:4], v[17:18], v[3:4]
	v_mul_f64 v[17:18], v[94:95], s[34:35]
	v_add_f64 v[7:8], v[7:8], v[11:12]
	v_fma_f64 v[11:12], v[134:135], s[10:11], v[179:180]
	v_fma_f64 v[126:127], v[124:125], s[14:15], v[17:18]
	v_fma_f64 v[9:10], v[124:125], s[14:15], -v[17:18]
	v_mul_f64 v[17:18], v[102:103], s[26:27]
	v_add_f64 v[1:2], v[126:127], v[1:2]
	v_add_f64 v[126:127], v[68:69], v[41:42]
	;; [unrolled: 1-line block ×4, first 2 shown]
	v_fma_f64 v[128:129], v[126:127], s[14:15], -v[151:152]
	v_fma_f64 v[9:10], v[126:127], s[14:15], v[151:152]
	v_mul_f64 v[151:152], v[98:99], s[30:31]
	v_add_f64 v[3:4], v[128:129], v[3:4]
	v_add_f64 v[128:129], v[66:67], v[47:48]
	v_add_f64 v[7:8], v[9:10], v[7:8]
	v_add_f64 v[66:67], v[70:71], v[66:67]
	v_fma_f64 v[130:131], v[128:129], s[0:1], v[153:154]
	v_fma_f64 v[9:10], v[128:129], s[0:1], -v[153:154]
	v_fma_f64 v[153:154], v[120:121], s[14:15], v[151:152]
	v_add_f64 v[1:2], v[130:131], v[1:2]
	v_add_f64 v[130:131], v[64:65], v[43:44]
	;; [unrolled: 1-line block ×4, first 2 shown]
	v_fma_f64 v[132:133], v[130:131], s[0:1], -v[173:174]
	v_fma_f64 v[9:10], v[130:131], s[0:1], v[173:174]
	v_mul_f64 v[173:174], v[86:87], s[18:19]
	v_add_f64 v[56:57], v[64:65], v[56:57]
	v_add_f64 v[175:176], v[132:133], v[3:4]
	;; [unrolled: 1-line block ×6, first 2 shown]
	v_fma_f64 v[7:8], v[132:133], s[10:11], -v[177:178]
	v_fma_f64 v[3:4], v[132:133], s[10:11], v[177:178]
	v_add_f64 v[49:50], v[49:50], v[60:61]
	v_add_f64 v[43:44], v[56:57], v[43:44]
	;; [unrolled: 1-line block ×4, first 2 shown]
	v_fma_f64 v[9:10], v[116:117], s[10:11], v[17:18]
	v_fma_f64 v[11:12], v[118:119], s[10:11], -v[19:20]
	v_fma_f64 v[17:18], v[116:117], s[10:11], -v[17:18]
	v_fma_f64 v[19:20], v[118:119], s[10:11], v[19:20]
	v_add_f64 v[3:4], v[3:4], v[1:2]
	v_fma_f64 v[1:2], v[134:135], s[10:11], -v[179:180]
	v_add_f64 v[47:48], v[49:50], v[47:48]
	v_add_f64 v[41:42], v[43:44], v[41:42]
	;; [unrolled: 1-line block ×5, first 2 shown]
	v_fma_f64 v[25:26], v[120:121], s[14:15], -v[151:152]
	v_add_f64 v[19:20], v[19:20], v[161:162]
	v_add_f64 v[1:2], v[1:2], v[175:176]
	v_mul_f64 v[175:176], v[90:91], s[18:19]
	v_mul_f64 v[151:152], v[100:101], s[38:39]
	v_add_f64 v[45:46], v[47:48], v[45:46]
	v_add_f64 v[41:42], v[41:42], v[51:52]
	;; [unrolled: 1-line block ×3, first 2 shown]
	v_mul_f64 v[153:154], v[96:97], s[30:31]
	v_add_f64 v[17:18], v[25:26], v[17:18]
	v_add_f64 v[37:38], v[45:46], v[37:38]
	;; [unrolled: 1-line block ×3, first 2 shown]
	v_fma_f64 v[155:156], v[122:123], s[14:15], -v[153:154]
	v_fma_f64 v[25:26], v[122:123], s[14:15], v[153:154]
	v_fma_f64 v[153:154], v[120:121], s[24:25], v[23:24]
	v_fma_f64 v[23:24], v[120:121], s[24:25], -v[23:24]
	v_add_f64 v[37:38], v[37:38], v[74:75]
	v_add_f64 v[39:40], v[43:44], v[39:40]
	;; [unrolled: 1-line block ×3, first 2 shown]
	v_mul_f64 v[155:156], v[94:95], s[36:37]
	v_add_f64 v[19:20], v[25:26], v[19:20]
	v_add_f64 v[41:42], v[37:38], v[62:63]
	v_lshrrev_b32_e32 v37, 5, v0
	v_mul_u32_u24_e32 v37, 52, v37
	v_or_b32_e32 v37, v37, v54
	v_fma_f64 v[157:158], v[124:125], s[20:21], v[155:156]
	v_fma_f64 v[25:26], v[124:125], s[20:21], -v[155:156]
	v_lshlrev_b32_e32 v37, 7, v37
	v_add3_u32 v37, 0, v37, v150
	v_add_f64 v[9:10], v[157:158], v[9:10]
	v_mul_f64 v[157:158], v[92:93], s[36:37]
	v_add_f64 v[17:18], v[25:26], v[17:18]
	v_fma_f64 v[159:160], v[126:127], s[20:21], -v[157:158]
	v_fma_f64 v[25:26], v[126:127], s[20:21], v[157:158]
	v_add_f64 v[11:12], v[159:160], v[11:12]
	v_fma_f64 v[159:160], v[128:129], s[24:25], v[13:14]
	v_add_f64 v[19:20], v[25:26], v[19:20]
	v_fma_f64 v[13:14], v[128:129], s[24:25], -v[13:14]
	v_mul_f64 v[25:26], v[102:103], s[38:39]
	v_add_f64 v[9:10], v[159:160], v[9:10]
	v_fma_f64 v[159:160], v[130:131], s[24:25], -v[15:16]
	v_fma_f64 v[15:16], v[130:131], s[24:25], v[15:16]
	v_add_f64 v[13:14], v[13:14], v[17:18]
	v_add_f64 v[159:160], v[159:160], v[11:12]
	;; [unrolled: 1-line block ×3, first 2 shown]
	v_fma_f64 v[15:16], v[132:133], s[0:1], -v[173:174]
	v_fma_f64 v[19:20], v[134:135], s[0:1], v[175:176]
	v_fma_f64 v[11:12], v[132:133], s[0:1], v[173:174]
	v_add_f64 v[15:16], v[15:16], v[13:14]
	v_add_f64 v[13:14], v[19:20], v[17:18]
	v_fma_f64 v[17:18], v[116:117], s[6:7], v[25:26]
	v_fma_f64 v[19:20], v[118:119], s[6:7], -v[151:152]
	v_fma_f64 v[25:26], v[116:117], s[6:7], -v[25:26]
	v_add_f64 v[11:12], v[11:12], v[9:10]
	v_fma_f64 v[9:10], v[134:135], s[0:1], -v[175:176]
	v_add_f64 v[17:18], v[17:18], v[163:164]
	v_add_f64 v[19:20], v[19:20], v[165:166]
	;; [unrolled: 1-line block ×3, first 2 shown]
	v_fma_f64 v[27:28], v[118:119], s[6:7], v[151:152]
	v_add_f64 v[9:10], v[9:10], v[159:160]
	v_mul_f64 v[163:164], v[86:87], s[34:35]
	v_mul_f64 v[151:152], v[102:103], s[22:23]
	;; [unrolled: 1-line block ×3, first 2 shown]
	s_mov_b32 s35, 0x3fedeba7
	s_mov_b32 s34, s18
	v_add_f64 v[17:18], v[153:154], v[17:18]
	v_fma_f64 v[153:154], v[122:123], s[24:25], -v[21:22]
	v_add_f64 v[23:24], v[23:24], v[25:26]
	v_add_f64 v[27:28], v[27:28], v[167:168]
	v_fma_f64 v[21:22], v[122:123], s[24:25], v[21:22]
	v_mul_f64 v[167:168], v[90:91], s[16:17]
	v_mul_f64 v[90:91], v[90:91], s[22:23]
	v_add_f64 v[19:20], v[153:154], v[19:20]
	v_mul_f64 v[153:154], v[94:95], s[28:29]
	v_add_f64 v[21:22], v[21:22], v[27:28]
	v_fma_f64 v[27:28], v[134:135], s[14:15], v[165:166]
	v_fma_f64 v[155:156], v[124:125], s[10:11], v[153:154]
	v_fma_f64 v[25:26], v[124:125], s[10:11], -v[153:154]
	v_mul_f64 v[153:154], v[100:101], s[22:23]
	v_add_f64 v[17:18], v[155:156], v[17:18]
	v_mul_f64 v[155:156], v[92:93], s[28:29]
	v_add_f64 v[23:24], v[25:26], v[23:24]
	v_fma_f64 v[157:158], v[126:127], s[10:11], -v[155:156]
	v_fma_f64 v[25:26], v[126:127], s[10:11], v[155:156]
	v_mul_f64 v[155:156], v[98:99], s[34:35]
	v_add_f64 v[19:20], v[157:158], v[19:20]
	v_mul_f64 v[157:158], v[88:89], s[36:37]
	v_add_f64 v[21:22], v[25:26], v[21:22]
	v_fma_f64 v[159:160], v[128:129], s[20:21], v[157:158]
	v_fma_f64 v[25:26], v[128:129], s[20:21], -v[157:158]
	v_fma_f64 v[157:158], v[120:121], s[0:1], v[155:156]
	v_add_f64 v[17:18], v[159:160], v[17:18]
	v_mul_f64 v[159:160], v[84:85], s[36:37]
	v_add_f64 v[23:24], v[25:26], v[23:24]
	v_fma_f64 v[25:26], v[130:131], s[20:21], v[159:160]
	v_fma_f64 v[161:162], v[130:131], s[20:21], -v[159:160]
	v_add_f64 v[21:22], v[25:26], v[21:22]
	v_fma_f64 v[25:26], v[132:133], s[14:15], -v[163:164]
	v_add_f64 v[161:162], v[161:162], v[19:20]
	v_fma_f64 v[19:20], v[132:133], s[14:15], v[163:164]
	v_add_f64 v[21:22], v[27:28], v[21:22]
	v_add_f64 v[23:24], v[25:26], v[23:24]
	v_fma_f64 v[25:26], v[116:117], s[20:21], v[151:152]
	v_fma_f64 v[27:28], v[118:119], s[20:21], -v[153:154]
	v_fma_f64 v[151:152], v[116:117], s[20:21], -v[151:152]
	v_add_f64 v[19:20], v[19:20], v[17:18]
	v_fma_f64 v[17:18], v[134:135], s[14:15], -v[165:166]
	v_mul_f64 v[165:166], v[86:87], s[16:17]
	v_add_f64 v[25:26], v[25:26], v[169:170]
	v_add_f64 v[27:28], v[27:28], v[171:172]
	;; [unrolled: 1-line block ×3, first 2 shown]
	v_fma_f64 v[151:152], v[118:119], s[20:21], v[153:154]
	v_add_f64 v[17:18], v[17:18], v[161:162]
	v_add_f64 v[25:26], v[157:158], v[25:26]
	v_mul_f64 v[157:158], v[96:97], s[34:35]
	v_add_f64 v[144:145], v[151:152], v[144:145]
	v_fma_f64 v[151:152], v[120:121], s[0:1], -v[155:156]
	v_fma_f64 v[159:160], v[122:123], s[0:1], -v[157:158]
	v_add_f64 v[146:147], v[151:152], v[146:147]
	v_fma_f64 v[151:152], v[122:123], s[0:1], v[157:158]
	v_add_f64 v[27:28], v[159:160], v[27:28]
	v_fma_f64 v[159:160], v[124:125], s[24:25], v[31:32]
	v_fma_f64 v[31:32], v[124:125], s[24:25], -v[31:32]
	v_add_f64 v[144:145], v[151:152], v[144:145]
	v_add_f64 v[25:26], v[159:160], v[25:26]
	v_fma_f64 v[159:160], v[126:127], s[24:25], -v[29:30]
	v_fma_f64 v[29:30], v[126:127], s[24:25], v[29:30]
	v_add_f64 v[31:32], v[31:32], v[146:147]
	v_fma_f64 v[146:147], v[134:135], s[6:7], v[167:168]
	v_add_f64 v[27:28], v[159:160], v[27:28]
	v_mul_f64 v[159:160], v[88:89], s[30:31]
	v_add_f64 v[29:30], v[29:30], v[144:145]
	v_fma_f64 v[161:162], v[128:129], s[14:15], v[159:160]
	v_fma_f64 v[144:145], v[128:129], s[14:15], -v[159:160]
	v_add_f64 v[25:26], v[161:162], v[25:26]
	v_mul_f64 v[161:162], v[84:85], s[30:31]
	v_add_f64 v[31:32], v[144:145], v[31:32]
	v_fma_f64 v[144:145], v[130:131], s[14:15], v[161:162]
	v_fma_f64 v[163:164], v[130:131], s[14:15], -v[161:162]
	v_add_f64 v[29:30], v[144:145], v[29:30]
	v_fma_f64 v[144:145], v[132:133], s[6:7], -v[165:166]
	v_add_f64 v[163:164], v[163:164], v[27:28]
	v_fma_f64 v[27:28], v[132:133], s[6:7], v[165:166]
	v_add_f64 v[29:30], v[146:147], v[29:30]
	v_add_f64 v[31:32], v[144:145], v[31:32]
	v_mul_f64 v[144:145], v[102:103], s[18:19]
	v_add_f64 v[27:28], v[27:28], v[25:26]
	v_fma_f64 v[25:26], v[134:135], s[6:7], -v[167:168]
	v_mul_f64 v[102:103], v[102:103], s[30:31]
	v_fma_f64 v[146:147], v[116:117], s[0:1], v[144:145]
	v_fma_f64 v[144:145], v[116:117], s[0:1], -v[144:145]
	v_add_f64 v[25:26], v[25:26], v[163:164]
	v_add_f64 v[35:36], v[146:147], v[35:36]
	v_mul_f64 v[146:147], v[100:101], s[18:19]
	v_add_f64 v[142:143], v[144:145], v[142:143]
	v_mul_f64 v[100:101], v[100:101], s[30:31]
	v_fma_f64 v[151:152], v[118:119], s[0:1], -v[146:147]
	v_fma_f64 v[144:145], v[118:119], s[0:1], v[146:147]
	v_add_f64 v[33:34], v[151:152], v[33:34]
	v_mul_f64 v[151:152], v[98:99], s[22:23]
	v_add_f64 v[140:141], v[144:145], v[140:141]
	v_mul_f64 v[98:99], v[98:99], s[28:29]
	v_fma_f64 v[153:154], v[120:121], s[20:21], v[151:152]
	v_fma_f64 v[144:145], v[120:121], s[20:21], -v[151:152]
	v_add_f64 v[35:36], v[153:154], v[35:36]
	v_mul_f64 v[153:154], v[96:97], s[22:23]
	v_add_f64 v[142:143], v[144:145], v[142:143]
	v_mul_f64 v[96:97], v[96:97], s[28:29]
	v_fma_f64 v[155:156], v[122:123], s[20:21], -v[153:154]
	v_fma_f64 v[144:145], v[122:123], s[20:21], v[153:154]
	v_add_f64 v[33:34], v[155:156], v[33:34]
	v_mul_f64 v[155:156], v[94:95], s[38:39]
	v_add_f64 v[140:141], v[144:145], v[140:141]
	v_mul_f64 v[94:95], v[94:95], s[18:19]
	v_fma_f64 v[157:158], v[124:125], s[6:7], v[155:156]
	v_fma_f64 v[144:145], v[124:125], s[6:7], -v[155:156]
	;; [unrolled: 12-line block ×3, first 2 shown]
	v_add_f64 v[35:36], v[161:162], v[35:36]
	v_mul_f64 v[161:162], v[84:85], s[26:27]
	v_add_f64 v[142:143], v[144:145], v[142:143]
	v_fma_f64 v[163:164], v[130:131], s[10:11], -v[161:162]
	v_fma_f64 v[144:145], v[130:131], s[10:11], v[161:162]
	v_add_f64 v[33:34], v[163:164], v[33:34]
	v_fma_f64 v[163:164], v[132:133], s[24:25], v[104:105]
	v_add_f64 v[140:141], v[144:145], v[140:141]
	v_fma_f64 v[104:105], v[132:133], s[24:25], -v[104:105]
	v_fma_f64 v[144:145], v[134:135], s[24:25], v[106:107]
	v_add_f64 v[35:36], v[163:164], v[35:36]
	v_fma_f64 v[163:164], v[134:135], s[24:25], -v[106:107]
	v_add_f64 v[106:107], v[104:105], v[142:143]
	v_add_f64 v[104:105], v[144:145], v[140:141]
	v_fma_f64 v[140:141], v[116:117], s[14:15], v[102:103]
	v_fma_f64 v[102:103], v[116:117], s[14:15], -v[102:103]
	v_add_f64 v[33:34], v[163:164], v[33:34]
	v_add_f64 v[138:139], v[140:141], v[138:139]
	v_fma_f64 v[140:141], v[118:119], s[14:15], -v[100:101]
	v_fma_f64 v[100:101], v[118:119], s[14:15], v[100:101]
	v_add_f64 v[102:103], v[102:103], v[112:113]
	v_add_f64 v[136:137], v[140:141], v[136:137]
	v_fma_f64 v[140:141], v[120:121], s[10:11], v[98:99]
	v_fma_f64 v[98:99], v[120:121], s[10:11], -v[98:99]
	v_add_f64 v[100:101], v[100:101], v[114:115]
	v_add_f64 v[138:139], v[140:141], v[138:139]
	v_fma_f64 v[140:141], v[122:123], s[10:11], -v[96:97]
	v_fma_f64 v[96:97], v[122:123], s[10:11], v[96:97]
	;; [unrolled: 8-line block ×3, first 2 shown]
	v_add_f64 v[94:95], v[94:95], v[98:99]
	v_fma_f64 v[98:99], v[134:135], s[20:21], v[90:91]
	v_add_f64 v[136:137], v[140:141], v[136:137]
	v_fma_f64 v[140:141], v[128:129], s[6:7], v[88:89]
	v_fma_f64 v[88:89], v[128:129], s[6:7], -v[88:89]
	v_add_f64 v[92:93], v[92:93], v[96:97]
	v_add_f64 v[138:139], v[140:141], v[138:139]
	v_mul_f64 v[140:141], v[84:85], s[16:17]
	v_add_f64 v[88:89], v[88:89], v[94:95]
	v_fma_f64 v[84:85], v[130:131], s[6:7], -v[140:141]
	v_fma_f64 v[100:101], v[130:131], s[6:7], v[140:141]
	v_add_f64 v[84:85], v[84:85], v[136:137]
	v_mul_f64 v[136:137], v[86:87], s[22:23]
	v_add_f64 v[92:93], v[100:101], v[92:93]
	v_fma_f64 v[86:87], v[132:133], s[20:21], v[136:137]
	v_fma_f64 v[96:97], v[132:133], s[20:21], -v[136:137]
	v_add_f64 v[86:87], v[86:87], v[138:139]
	v_fma_f64 v[138:139], v[134:135], s[20:21], -v[90:91]
	v_add_f64 v[90:91], v[96:97], v[88:89]
	v_add_f64 v[88:89], v[98:99], v[92:93]
	v_add_f64 v[84:85], v[138:139], v[84:85]
	ds_write_b128 v37, v[104:107] offset:1024
	ds_write_b128 v37, v[29:32] offset:1536
	ds_write_b128 v37, v[21:24] offset:2048
	ds_write_b128 v37, v[13:16] offset:2560
	ds_write_b128 v37, v[5:8] offset:3072
	ds_write_b128 v37, v[1:4] offset:3584
	ds_write_b128 v37, v[9:12] offset:4096
	ds_write_b128 v37, v[17:20] offset:4608
	ds_write_b128 v37, v[25:28] offset:5120
	ds_write_b128 v37, v[33:36] offset:5632
	ds_write_b128 v37, v[88:91] offset:512
	ds_write_b128 v37, v[39:42]
	ds_write_b128 v37, v[84:87] offset:6144
.LBB0_6:
	s_or_b32 exec_lo, exec_lo, s33
	v_and_b32_e32 v1, 0xff, v149
	v_and_b32_e32 v2, 0xff, v148
	s_load_dwordx2 s[0:1], s[4:5], 0x8
	v_mov_b32_e32 v9, 4
	s_waitcnt lgkmcnt(0)
	v_mul_lo_u16 v1, 0x4f, v1
	v_mul_lo_u16 v2, 0x4f, v2
	s_barrier
	buffer_gl0_inv
	v_lshlrev_b32_e32 v58, 7, v149
	v_lshrrev_b16 v1, 12, v1
	v_lshrrev_b16 v2, 12, v2
	v_lshlrev_b32_e32 v67, 7, v148
	s_mov_b32 s11, 0x31014000
	v_add3_u32 v66, 0, v58, v150
	v_mul_lo_u16 v1, v1, 52
	v_mul_lo_u16 v2, v2, 52
	v_add3_u32 v70, 0, v67, v150
	s_mov_b32 s10, -2
	v_sub_nc_u16 v1, v149, v1
	v_sub_nc_u16 v2, v148, v2
	v_and_b32_e32 v86, 0xff, v1
	v_and_b32_e32 v87, 0xff, v2
	v_mul_lo_u32 v41, v55, v86
	v_add_nc_u32_e32 v1, 52, v86
	v_add_nc_u32_e32 v10, 52, v87
	v_mul_lo_u32 v42, v55, v87
	v_lshlrev_b32_e32 v2, 4, v86
	v_lshlrev_b32_e32 v5, 4, v87
	v_mul_lo_u32 v43, v55, v1
	v_mul_lo_u32 v44, v55, v10
	v_bfe_u32 v11, v41, 8, 8
	v_lshlrev_b32_sdwa v10, v9, v41 dst_sel:DWORD dst_unused:UNUSED_PAD src0_sel:DWORD src1_sel:BYTE_0
	s_clause 0x1
	global_load_dwordx4 v[1:4], v2, s[2:3] offset:768
	global_load_dwordx4 v[5:8], v5, s[2:3] offset:768
	v_bfe_u32 v12, v42, 8, 8
	v_lshlrev_b32_sdwa v17, v9, v42 dst_sel:DWORD dst_unused:UNUSED_PAD src0_sel:DWORD src1_sel:BYTE_0
	v_lshl_or_b32 v13, v11, 4, 0x1000
	v_bfe_u32 v18, v43, 8, 8
	v_bfe_u32 v19, v44, 8, 8
	v_lshl_or_b32 v21, v12, 4, 0x1000
	v_lshlrev_b32_sdwa v25, v9, v43 dst_sel:DWORD dst_unused:UNUSED_PAD src0_sel:DWORD src1_sel:BYTE_0
	v_lshlrev_b32_sdwa v33, v9, v44 dst_sel:DWORD dst_unused:UNUSED_PAD src0_sel:DWORD src1_sel:BYTE_0
	s_clause 0x1
	global_load_dwordx4 v[9:12], v10, s[0:1]
	global_load_dwordx4 v[13:16], v13, s[0:1]
	v_lshl_or_b32 v29, v18, 4, 0x1000
	v_lshl_or_b32 v37, v19, 4, 0x1000
	s_clause 0x5
	global_load_dwordx4 v[17:20], v17, s[0:1]
	global_load_dwordx4 v[21:24], v21, s[0:1]
	;; [unrolled: 1-line block ×6, first 2 shown]
	v_bfe_u32 v41, v41, 16, 8
	v_bfe_u32 v42, v42, 16, 8
	;; [unrolled: 1-line block ×4, first 2 shown]
	v_lshl_or_b32 v41, v41, 4, 0x2000
	v_lshl_or_b32 v46, v42, 4, 0x2000
	;; [unrolled: 1-line block ×4, first 2 shown]
	s_clause 0x3
	global_load_dwordx4 v[41:44], v41, s[0:1]
	global_load_dwordx4 v[45:48], v46, s[0:1]
	;; [unrolled: 1-line block ×4, first 2 shown]
	ds_read_b128 v[58:61], v66 offset:6656
	ds_read_b128 v[62:65], v66 offset:9984
	ds_read_b128 v[66:69], v66
	ds_read_b128 v[70:73], v70
	s_waitcnt vmcnt(13) lgkmcnt(3)
	v_mul_f64 v[74:75], v[60:61], v[3:4]
	v_mul_f64 v[3:4], v[58:59], v[3:4]
	s_waitcnt vmcnt(12) lgkmcnt(2)
	v_mul_f64 v[78:79], v[62:63], v[7:8]
	v_mul_f64 v[7:8], v[64:65], v[7:8]
	s_waitcnt vmcnt(8)
	v_mul_f64 v[80:81], v[19:20], v[23:24]
	v_mul_f64 v[76:77], v[11:12], v[15:16]
	s_waitcnt vmcnt(6)
	;; [unrolled: 3-line block ×3, first 2 shown]
	v_mul_f64 v[84:85], v[35:36], v[39:40]
	v_mul_f64 v[23:24], v[17:18], v[23:24]
	;; [unrolled: 1-line block ×4, first 2 shown]
	v_fma_f64 v[58:59], v[58:59], v[1:2], v[74:75]
	v_fma_f64 v[1:2], v[60:61], v[1:2], -v[3:4]
	v_fma_f64 v[17:18], v[17:18], v[21:22], -v[80:81]
	;; [unrolled: 1-line block ×4, first 2 shown]
	v_fma_f64 v[5:6], v[62:63], v[5:6], v[7:8]
	v_fma_f64 v[7:8], v[25:26], v[29:30], -v[82:83]
	v_fma_f64 v[25:26], v[33:34], v[37:38], -v[84:85]
	v_fma_f64 v[11:12], v[11:12], v[13:14], v[15:16]
	v_fma_f64 v[13:14], v[19:20], v[21:22], v[23:24]
	v_fma_f64 v[15:16], v[27:28], v[29:30], v[31:32]
	v_fma_f64 v[19:20], v[35:36], v[37:38], v[39:40]
	s_waitcnt lgkmcnt(1)
	v_add_f64 v[21:22], v[66:67], -v[58:59]
	v_add_f64 v[23:24], v[68:69], -v[1:2]
	s_waitcnt vmcnt(3)
	v_mul_f64 v[1:2], v[3:4], v[43:44]
	s_waitcnt lgkmcnt(0)
	v_add_f64 v[27:28], v[72:73], -v[9:10]
	s_waitcnt vmcnt(2)
	v_mul_f64 v[9:10], v[17:18], v[47:48]
	v_add_f64 v[29:30], v[70:71], -v[5:6]
	s_waitcnt vmcnt(1)
	v_mul_f64 v[5:6], v[7:8], v[51:52]
	s_waitcnt vmcnt(0)
	v_mul_f64 v[31:32], v[25:26], v[56:57]
	v_mul_f64 v[33:34], v[11:12], v[43:44]
	;; [unrolled: 1-line block ×5, first 2 shown]
	v_fma_f64 v[43:44], v[66:67], 2.0, -v[21:22]
	v_fma_f64 v[47:48], v[68:69], 2.0, -v[23:24]
	v_fma_f64 v[1:2], v[41:42], v[11:12], v[1:2]
	v_fma_f64 v[11:12], v[72:73], 2.0, -v[27:28]
	v_fma_f64 v[9:10], v[45:46], v[13:14], v[9:10]
	;; [unrolled: 2-line block ×3, first 2 shown]
	v_fma_f64 v[15:16], v[54:55], v[19:20], v[31:32]
	v_mov_b32_e32 v19, 0x4ec5
	v_fma_f64 v[3:4], v[41:42], v[3:4], -v[33:34]
	v_fma_f64 v[17:18], v[45:46], v[17:18], -v[35:36]
	;; [unrolled: 1-line block ×3, first 2 shown]
	v_mul_u32_u24_sdwa v0, v0, v19 dst_sel:DWORD dst_unused:UNUSED_PAD src0_sel:WORD_0 src1_sel:DWORD
	v_fma_f64 v[19:20], v[49:50], v[7:8], -v[37:38]
	v_lshrrev_b32_e32 v0, 23, v0
	v_mul_lo_u16 v0, 0x68, v0
	v_mul_f64 v[7:8], v[47:48], v[1:2]
	v_mul_f64 v[31:32], v[43:44], v[1:2]
	;; [unrolled: 1-line block ×8, first 2 shown]
	v_sub_nc_u32_e32 v1, v148, v87
	v_add_nc_u32_sdwa v0, v0, v86 dst_sel:DWORD dst_unused:UNUSED_PAD src0_sel:WORD_0 src1_sel:DWORD
	v_add_nc_u32_e32 v41, v1, v148
	v_mul_lo_u32 v42, s12, v0
	v_add_nc_u32_e32 v45, 52, v0
	v_add_nc_u32_e32 v46, 52, v41
	v_fma_f64 v[0:1], v[43:44], v[3:4], v[7:8]
	v_fma_f64 v[2:3], v[47:48], v[3:4], -v[31:32]
	v_fma_f64 v[4:5], v[13:14], v[17:18], v[33:34]
	v_fma_f64 v[6:7], v[11:12], v[17:18], -v[9:10]
	;; [unrolled: 2-line block ×4, first 2 shown]
	v_mul_lo_u32 v16, s12, v45
	v_mul_lo_u32 v17, s12, v41
	;; [unrolled: 1-line block ×3, first 2 shown]
	v_add_lshl_u32 v19, v53, v42, 4
	v_add_lshl_u32 v16, v53, v16, 4
	;; [unrolled: 1-line block ×4, first 2 shown]
	v_cndmask_b32_e32 v19, -1, v19, vcc_lo
	v_cndmask_b32_e32 v16, -1, v16, vcc_lo
	;; [unrolled: 1-line block ×4, first 2 shown]
	buffer_store_dwordx4 v[0:3], v19, s[8:11], s13 offen
	buffer_store_dwordx4 v[8:11], v16, s[8:11], s13 offen
	;; [unrolled: 1-line block ×4, first 2 shown]
	s_endpgm
	.section	.rodata,"a",@progbits
	.p2align	6, 0x0
	.amdhsa_kernel fft_rtc_back_len104_factors_4_13_2_wgs_208_tpt_26_dim2_dp_ip_CI_sbcc_twdbase8_3step_dirReg_intrinsicReadWrite
		.amdhsa_group_segment_fixed_size 0
		.amdhsa_private_segment_fixed_size 0
		.amdhsa_kernarg_size 88
		.amdhsa_user_sgpr_count 6
		.amdhsa_user_sgpr_private_segment_buffer 1
		.amdhsa_user_sgpr_dispatch_ptr 0
		.amdhsa_user_sgpr_queue_ptr 0
		.amdhsa_user_sgpr_kernarg_segment_ptr 1
		.amdhsa_user_sgpr_dispatch_id 0
		.amdhsa_user_sgpr_flat_scratch_init 0
		.amdhsa_user_sgpr_private_segment_size 0
		.amdhsa_wavefront_size32 1
		.amdhsa_uses_dynamic_stack 0
		.amdhsa_system_sgpr_private_segment_wavefront_offset 0
		.amdhsa_system_sgpr_workgroup_id_x 1
		.amdhsa_system_sgpr_workgroup_id_y 0
		.amdhsa_system_sgpr_workgroup_id_z 0
		.amdhsa_system_sgpr_workgroup_info 0
		.amdhsa_system_vgpr_workitem_id 0
		.amdhsa_next_free_vgpr 181
		.amdhsa_next_free_sgpr 40
		.amdhsa_reserve_vcc 1
		.amdhsa_reserve_flat_scratch 0
		.amdhsa_float_round_mode_32 0
		.amdhsa_float_round_mode_16_64 0
		.amdhsa_float_denorm_mode_32 3
		.amdhsa_float_denorm_mode_16_64 3
		.amdhsa_dx10_clamp 1
		.amdhsa_ieee_mode 1
		.amdhsa_fp16_overflow 0
		.amdhsa_workgroup_processor_mode 1
		.amdhsa_memory_ordered 1
		.amdhsa_forward_progress 0
		.amdhsa_shared_vgpr_count 0
		.amdhsa_exception_fp_ieee_invalid_op 0
		.amdhsa_exception_fp_denorm_src 0
		.amdhsa_exception_fp_ieee_div_zero 0
		.amdhsa_exception_fp_ieee_overflow 0
		.amdhsa_exception_fp_ieee_underflow 0
		.amdhsa_exception_fp_ieee_inexact 0
		.amdhsa_exception_int_div_zero 0
	.end_amdhsa_kernel
	.text
.Lfunc_end0:
	.size	fft_rtc_back_len104_factors_4_13_2_wgs_208_tpt_26_dim2_dp_ip_CI_sbcc_twdbase8_3step_dirReg_intrinsicReadWrite, .Lfunc_end0-fft_rtc_back_len104_factors_4_13_2_wgs_208_tpt_26_dim2_dp_ip_CI_sbcc_twdbase8_3step_dirReg_intrinsicReadWrite
                                        ; -- End function
	.section	.AMDGPU.csdata,"",@progbits
; Kernel info:
; codeLenInByte = 6308
; NumSgprs: 42
; NumVgprs: 181
; ScratchSize: 0
; MemoryBound: 0
; FloatMode: 240
; IeeeMode: 1
; LDSByteSize: 0 bytes/workgroup (compile time only)
; SGPRBlocks: 5
; VGPRBlocks: 22
; NumSGPRsForWavesPerEU: 42
; NumVGPRsForWavesPerEU: 181
; Occupancy: 5
; WaveLimiterHint : 0
; COMPUTE_PGM_RSRC2:SCRATCH_EN: 0
; COMPUTE_PGM_RSRC2:USER_SGPR: 6
; COMPUTE_PGM_RSRC2:TRAP_HANDLER: 0
; COMPUTE_PGM_RSRC2:TGID_X_EN: 1
; COMPUTE_PGM_RSRC2:TGID_Y_EN: 0
; COMPUTE_PGM_RSRC2:TGID_Z_EN: 0
; COMPUTE_PGM_RSRC2:TIDIG_COMP_CNT: 0
	.text
	.p2alignl 6, 3214868480
	.fill 48, 4, 3214868480
	.type	__hip_cuid_2e3383c41899be35,@object ; @__hip_cuid_2e3383c41899be35
	.section	.bss,"aw",@nobits
	.globl	__hip_cuid_2e3383c41899be35
__hip_cuid_2e3383c41899be35:
	.byte	0                               ; 0x0
	.size	__hip_cuid_2e3383c41899be35, 1

	.ident	"AMD clang version 19.0.0git (https://github.com/RadeonOpenCompute/llvm-project roc-6.4.0 25133 c7fe45cf4b819c5991fe208aaa96edf142730f1d)"
	.section	".note.GNU-stack","",@progbits
	.addrsig
	.addrsig_sym __hip_cuid_2e3383c41899be35
	.amdgpu_metadata
---
amdhsa.kernels:
  - .args:
      - .actual_access:  read_only
        .address_space:  global
        .offset:         0
        .size:           8
        .value_kind:     global_buffer
      - .address_space:  global
        .offset:         8
        .size:           8
        .value_kind:     global_buffer
      - .actual_access:  read_only
        .address_space:  global
        .offset:         16
        .size:           8
        .value_kind:     global_buffer
      - .actual_access:  read_only
        .address_space:  global
        .offset:         24
        .size:           8
        .value_kind:     global_buffer
      - .offset:         32
        .size:           8
        .value_kind:     by_value
      - .actual_access:  read_only
        .address_space:  global
        .offset:         40
        .size:           8
        .value_kind:     global_buffer
      - .actual_access:  read_only
        .address_space:  global
        .offset:         48
        .size:           8
        .value_kind:     global_buffer
      - .offset:         56
        .size:           4
        .value_kind:     by_value
      - .actual_access:  read_only
        .address_space:  global
        .offset:         64
        .size:           8
        .value_kind:     global_buffer
      - .actual_access:  read_only
        .address_space:  global
        .offset:         72
        .size:           8
        .value_kind:     global_buffer
      - .address_space:  global
        .offset:         80
        .size:           8
        .value_kind:     global_buffer
    .group_segment_fixed_size: 0
    .kernarg_segment_align: 8
    .kernarg_segment_size: 88
    .language:       OpenCL C
    .language_version:
      - 2
      - 0
    .max_flat_workgroup_size: 208
    .name:           fft_rtc_back_len104_factors_4_13_2_wgs_208_tpt_26_dim2_dp_ip_CI_sbcc_twdbase8_3step_dirReg_intrinsicReadWrite
    .private_segment_fixed_size: 0
    .sgpr_count:     42
    .sgpr_spill_count: 0
    .symbol:         fft_rtc_back_len104_factors_4_13_2_wgs_208_tpt_26_dim2_dp_ip_CI_sbcc_twdbase8_3step_dirReg_intrinsicReadWrite.kd
    .uniform_work_group_size: 1
    .uses_dynamic_stack: false
    .vgpr_count:     181
    .vgpr_spill_count: 0
    .wavefront_size: 32
    .workgroup_processor_mode: 1
amdhsa.target:   amdgcn-amd-amdhsa--gfx1030
amdhsa.version:
  - 1
  - 2
...

	.end_amdgpu_metadata
